;; amdgpu-corpus repo=ROCm/rocFFT kind=compiled arch=gfx1201 opt=O3
	.text
	.amdgcn_target "amdgcn-amd-amdhsa--gfx1201"
	.amdhsa_code_object_version 6
	.protected	fft_rtc_back_len640_factors_8_10_8_wgs_128_tpt_64_halfLds_dp_op_CI_CI_unitstride_sbrr_dirReg ; -- Begin function fft_rtc_back_len640_factors_8_10_8_wgs_128_tpt_64_halfLds_dp_op_CI_CI_unitstride_sbrr_dirReg
	.globl	fft_rtc_back_len640_factors_8_10_8_wgs_128_tpt_64_halfLds_dp_op_CI_CI_unitstride_sbrr_dirReg
	.p2align	8
	.type	fft_rtc_back_len640_factors_8_10_8_wgs_128_tpt_64_halfLds_dp_op_CI_CI_unitstride_sbrr_dirReg,@function
fft_rtc_back_len640_factors_8_10_8_wgs_128_tpt_64_halfLds_dp_op_CI_CI_unitstride_sbrr_dirReg: ; @fft_rtc_back_len640_factors_8_10_8_wgs_128_tpt_64_halfLds_dp_op_CI_CI_unitstride_sbrr_dirReg
; %bb.0:
	s_clause 0x2
	s_load_b128 s[4:7], s[0:1], 0x0
	s_load_b128 s[8:11], s[0:1], 0x58
	;; [unrolled: 1-line block ×3, first 2 shown]
	v_lshrrev_b32_e32 v1, 6, v0
	v_mov_b32_e32 v3, 0
	s_delay_alu instid0(VALU_DEP_2) | instskip(SKIP_2) | instid1(VALU_DEP_4)
	v_lshl_or_b32 v5, ttmp9, 1, v1
	v_mov_b32_e32 v1, 0
	v_mov_b32_e32 v2, 0
	;; [unrolled: 1-line block ×3, first 2 shown]
	s_wait_kmcnt 0x0
	v_cmp_lt_u64_e64 s2, s[6:7], 2
	s_delay_alu instid0(VALU_DEP_1)
	s_and_b32 vcc_lo, exec_lo, s2
	s_cbranch_vccnz .LBB0_8
; %bb.1:
	s_load_b64 s[2:3], s[0:1], 0x10
	v_mov_b32_e32 v1, 0
	v_mov_b32_e32 v2, 0
	s_add_nc_u64 s[16:17], s[14:15], 8
	s_add_nc_u64 s[18:19], s[12:13], 8
	s_mov_b64 s[20:21], 1
	s_delay_alu instid0(VALU_DEP_1)
	v_dual_mov_b32 v68, v2 :: v_dual_mov_b32 v67, v1
	s_wait_kmcnt 0x0
	s_add_nc_u64 s[22:23], s[2:3], 8
	s_mov_b32 s3, 0
.LBB0_2:                                ; =>This Inner Loop Header: Depth=1
	s_load_b64 s[24:25], s[22:23], 0x0
                                        ; implicit-def: $vgpr69_vgpr70
	s_mov_b32 s2, exec_lo
	s_wait_kmcnt 0x0
	v_or_b32_e32 v4, s25, v6
	s_delay_alu instid0(VALU_DEP_1)
	v_cmpx_ne_u64_e32 0, v[3:4]
	s_wait_alu 0xfffe
	s_xor_b32 s26, exec_lo, s2
	s_cbranch_execz .LBB0_4
; %bb.3:                                ;   in Loop: Header=BB0_2 Depth=1
	s_cvt_f32_u32 s2, s24
	s_cvt_f32_u32 s27, s25
	s_sub_nc_u64 s[30:31], 0, s[24:25]
	s_wait_alu 0xfffe
	s_delay_alu instid0(SALU_CYCLE_1) | instskip(SKIP_1) | instid1(SALU_CYCLE_2)
	s_fmamk_f32 s2, s27, 0x4f800000, s2
	s_wait_alu 0xfffe
	v_s_rcp_f32 s2, s2
	s_delay_alu instid0(TRANS32_DEP_1) | instskip(SKIP_1) | instid1(SALU_CYCLE_2)
	s_mul_f32 s2, s2, 0x5f7ffffc
	s_wait_alu 0xfffe
	s_mul_f32 s27, s2, 0x2f800000
	s_wait_alu 0xfffe
	s_delay_alu instid0(SALU_CYCLE_2) | instskip(SKIP_1) | instid1(SALU_CYCLE_2)
	s_trunc_f32 s27, s27
	s_wait_alu 0xfffe
	s_fmamk_f32 s2, s27, 0xcf800000, s2
	s_cvt_u32_f32 s29, s27
	s_wait_alu 0xfffe
	s_delay_alu instid0(SALU_CYCLE_1) | instskip(SKIP_1) | instid1(SALU_CYCLE_2)
	s_cvt_u32_f32 s28, s2
	s_wait_alu 0xfffe
	s_mul_u64 s[34:35], s[30:31], s[28:29]
	s_wait_alu 0xfffe
	s_mul_hi_u32 s37, s28, s35
	s_mul_i32 s36, s28, s35
	s_mul_hi_u32 s2, s28, s34
	s_mul_i32 s33, s29, s34
	s_wait_alu 0xfffe
	s_add_nc_u64 s[36:37], s[2:3], s[36:37]
	s_mul_hi_u32 s27, s29, s34
	s_mul_hi_u32 s38, s29, s35
	s_add_co_u32 s2, s36, s33
	s_wait_alu 0xfffe
	s_add_co_ci_u32 s2, s37, s27
	s_mul_i32 s34, s29, s35
	s_add_co_ci_u32 s35, s38, 0
	s_wait_alu 0xfffe
	s_add_nc_u64 s[34:35], s[2:3], s[34:35]
	s_wait_alu 0xfffe
	v_add_co_u32 v4, s2, s28, s34
	s_delay_alu instid0(VALU_DEP_1) | instskip(SKIP_1) | instid1(VALU_DEP_1)
	s_cmp_lg_u32 s2, 0
	s_add_co_ci_u32 s29, s29, s35
	v_readfirstlane_b32 s28, v4
	s_wait_alu 0xfffe
	s_delay_alu instid0(VALU_DEP_1)
	s_mul_u64 s[30:31], s[30:31], s[28:29]
	s_wait_alu 0xfffe
	s_mul_hi_u32 s35, s28, s31
	s_mul_i32 s34, s28, s31
	s_mul_hi_u32 s2, s28, s30
	s_mul_i32 s33, s29, s30
	s_wait_alu 0xfffe
	s_add_nc_u64 s[34:35], s[2:3], s[34:35]
	s_mul_hi_u32 s27, s29, s30
	s_mul_hi_u32 s28, s29, s31
	s_wait_alu 0xfffe
	s_add_co_u32 s2, s34, s33
	s_add_co_ci_u32 s2, s35, s27
	s_mul_i32 s30, s29, s31
	s_add_co_ci_u32 s31, s28, 0
	s_wait_alu 0xfffe
	s_add_nc_u64 s[30:31], s[2:3], s[30:31]
	s_wait_alu 0xfffe
	v_add_co_u32 v4, s2, v4, s30
	s_delay_alu instid0(VALU_DEP_1) | instskip(SKIP_1) | instid1(VALU_DEP_1)
	s_cmp_lg_u32 s2, 0
	s_add_co_ci_u32 s2, s29, s31
	v_mul_hi_u32 v13, v5, v4
	s_wait_alu 0xfffe
	v_mad_co_u64_u32 v[7:8], null, v5, s2, 0
	v_mad_co_u64_u32 v[9:10], null, v6, v4, 0
	;; [unrolled: 1-line block ×3, first 2 shown]
	s_delay_alu instid0(VALU_DEP_3) | instskip(SKIP_1) | instid1(VALU_DEP_4)
	v_add_co_u32 v4, vcc_lo, v13, v7
	s_wait_alu 0xfffd
	v_add_co_ci_u32_e32 v7, vcc_lo, 0, v8, vcc_lo
	s_delay_alu instid0(VALU_DEP_2) | instskip(SKIP_1) | instid1(VALU_DEP_2)
	v_add_co_u32 v4, vcc_lo, v4, v9
	s_wait_alu 0xfffd
	v_add_co_ci_u32_e32 v4, vcc_lo, v7, v10, vcc_lo
	s_wait_alu 0xfffd
	v_add_co_ci_u32_e32 v7, vcc_lo, 0, v12, vcc_lo
	s_delay_alu instid0(VALU_DEP_2) | instskip(SKIP_1) | instid1(VALU_DEP_2)
	v_add_co_u32 v4, vcc_lo, v4, v11
	s_wait_alu 0xfffd
	v_add_co_ci_u32_e32 v9, vcc_lo, 0, v7, vcc_lo
	s_delay_alu instid0(VALU_DEP_2) | instskip(SKIP_1) | instid1(VALU_DEP_3)
	v_mul_lo_u32 v10, s25, v4
	v_mad_co_u64_u32 v[7:8], null, s24, v4, 0
	v_mul_lo_u32 v11, s24, v9
	s_delay_alu instid0(VALU_DEP_2) | instskip(NEXT) | instid1(VALU_DEP_2)
	v_sub_co_u32 v7, vcc_lo, v5, v7
	v_add3_u32 v8, v8, v11, v10
	s_delay_alu instid0(VALU_DEP_1) | instskip(SKIP_1) | instid1(VALU_DEP_1)
	v_sub_nc_u32_e32 v10, v6, v8
	s_wait_alu 0xfffd
	v_subrev_co_ci_u32_e64 v10, s2, s25, v10, vcc_lo
	v_add_co_u32 v11, s2, v4, 2
	s_wait_alu 0xf1ff
	v_add_co_ci_u32_e64 v12, s2, 0, v9, s2
	v_sub_co_u32 v13, s2, v7, s24
	v_sub_co_ci_u32_e32 v8, vcc_lo, v6, v8, vcc_lo
	s_wait_alu 0xf1ff
	v_subrev_co_ci_u32_e64 v10, s2, 0, v10, s2
	s_delay_alu instid0(VALU_DEP_3) | instskip(NEXT) | instid1(VALU_DEP_3)
	v_cmp_le_u32_e32 vcc_lo, s24, v13
	v_cmp_eq_u32_e64 s2, s25, v8
	s_wait_alu 0xfffd
	v_cndmask_b32_e64 v13, 0, -1, vcc_lo
	v_cmp_le_u32_e32 vcc_lo, s25, v10
	s_wait_alu 0xfffd
	v_cndmask_b32_e64 v14, 0, -1, vcc_lo
	v_cmp_le_u32_e32 vcc_lo, s24, v7
	;; [unrolled: 3-line block ×3, first 2 shown]
	s_wait_alu 0xfffd
	v_cndmask_b32_e64 v15, 0, -1, vcc_lo
	v_cmp_eq_u32_e32 vcc_lo, s25, v10
	s_wait_alu 0xf1ff
	s_delay_alu instid0(VALU_DEP_2)
	v_cndmask_b32_e64 v7, v15, v7, s2
	s_wait_alu 0xfffd
	v_cndmask_b32_e32 v10, v14, v13, vcc_lo
	v_add_co_u32 v13, vcc_lo, v4, 1
	s_wait_alu 0xfffd
	v_add_co_ci_u32_e32 v14, vcc_lo, 0, v9, vcc_lo
	s_delay_alu instid0(VALU_DEP_3) | instskip(SKIP_2) | instid1(VALU_DEP_3)
	v_cmp_ne_u32_e32 vcc_lo, 0, v10
	s_wait_alu 0xfffd
	v_cndmask_b32_e32 v10, v13, v11, vcc_lo
	v_cndmask_b32_e32 v8, v14, v12, vcc_lo
	v_cmp_ne_u32_e32 vcc_lo, 0, v7
	s_wait_alu 0xfffd
	s_delay_alu instid0(VALU_DEP_2)
	v_dual_cndmask_b32 v69, v4, v10 :: v_dual_cndmask_b32 v70, v9, v8
.LBB0_4:                                ;   in Loop: Header=BB0_2 Depth=1
	s_wait_alu 0xfffe
	s_and_not1_saveexec_b32 s2, s26
	s_cbranch_execz .LBB0_6
; %bb.5:                                ;   in Loop: Header=BB0_2 Depth=1
	v_cvt_f32_u32_e32 v4, s24
	s_sub_co_i32 s26, 0, s24
	v_mov_b32_e32 v70, v3
	s_delay_alu instid0(VALU_DEP_2) | instskip(NEXT) | instid1(TRANS32_DEP_1)
	v_rcp_iflag_f32_e32 v4, v4
	v_mul_f32_e32 v4, 0x4f7ffffe, v4
	s_delay_alu instid0(VALU_DEP_1) | instskip(SKIP_1) | instid1(VALU_DEP_1)
	v_cvt_u32_f32_e32 v4, v4
	s_wait_alu 0xfffe
	v_mul_lo_u32 v7, s26, v4
	s_delay_alu instid0(VALU_DEP_1) | instskip(NEXT) | instid1(VALU_DEP_1)
	v_mul_hi_u32 v7, v4, v7
	v_add_nc_u32_e32 v4, v4, v7
	s_delay_alu instid0(VALU_DEP_1) | instskip(NEXT) | instid1(VALU_DEP_1)
	v_mul_hi_u32 v4, v5, v4
	v_mul_lo_u32 v7, v4, s24
	v_add_nc_u32_e32 v8, 1, v4
	s_delay_alu instid0(VALU_DEP_2) | instskip(NEXT) | instid1(VALU_DEP_1)
	v_sub_nc_u32_e32 v7, v5, v7
	v_subrev_nc_u32_e32 v9, s24, v7
	v_cmp_le_u32_e32 vcc_lo, s24, v7
	s_wait_alu 0xfffd
	s_delay_alu instid0(VALU_DEP_2) | instskip(NEXT) | instid1(VALU_DEP_1)
	v_dual_cndmask_b32 v7, v7, v9 :: v_dual_cndmask_b32 v4, v4, v8
	v_cmp_le_u32_e32 vcc_lo, s24, v7
	s_delay_alu instid0(VALU_DEP_2) | instskip(SKIP_1) | instid1(VALU_DEP_1)
	v_add_nc_u32_e32 v8, 1, v4
	s_wait_alu 0xfffd
	v_cndmask_b32_e32 v69, v4, v8, vcc_lo
.LBB0_6:                                ;   in Loop: Header=BB0_2 Depth=1
	s_wait_alu 0xfffe
	s_or_b32 exec_lo, exec_lo, s2
	v_mul_lo_u32 v4, v70, s24
	s_delay_alu instid0(VALU_DEP_2)
	v_mul_lo_u32 v9, v69, s25
	s_load_b64 s[26:27], s[18:19], 0x0
	v_mad_co_u64_u32 v[7:8], null, v69, s24, 0
	s_load_b64 s[24:25], s[16:17], 0x0
	s_add_nc_u64 s[20:21], s[20:21], 1
	s_add_nc_u64 s[16:17], s[16:17], 8
	s_wait_alu 0xfffe
	v_cmp_ge_u64_e64 s2, s[20:21], s[6:7]
	s_add_nc_u64 s[18:19], s[18:19], 8
	s_add_nc_u64 s[22:23], s[22:23], 8
	v_add3_u32 v4, v8, v9, v4
	v_sub_co_u32 v5, vcc_lo, v5, v7
	s_wait_alu 0xfffd
	s_delay_alu instid0(VALU_DEP_2) | instskip(SKIP_2) | instid1(VALU_DEP_1)
	v_sub_co_ci_u32_e32 v4, vcc_lo, v6, v4, vcc_lo
	s_and_b32 vcc_lo, exec_lo, s2
	s_wait_kmcnt 0x0
	v_mul_lo_u32 v6, s26, v4
	v_mul_lo_u32 v7, s27, v5
	v_mad_co_u64_u32 v[1:2], null, s26, v5, v[1:2]
	v_mul_lo_u32 v4, s24, v4
	v_mul_lo_u32 v8, s25, v5
	v_mad_co_u64_u32 v[67:68], null, s24, v5, v[67:68]
	s_delay_alu instid0(VALU_DEP_4) | instskip(NEXT) | instid1(VALU_DEP_2)
	v_add3_u32 v2, v7, v2, v6
	v_add3_u32 v68, v8, v68, v4
	s_wait_alu 0xfffe
	s_cbranch_vccnz .LBB0_9
; %bb.7:                                ;   in Loop: Header=BB0_2 Depth=1
	v_dual_mov_b32 v5, v69 :: v_dual_mov_b32 v6, v70
	s_branch .LBB0_2
.LBB0_8:
	v_dual_mov_b32 v68, v2 :: v_dual_mov_b32 v67, v1
	v_dual_mov_b32 v70, v6 :: v_dual_mov_b32 v69, v5
.LBB0_9:
	s_load_b64 s[0:1], s[0:1], 0x28
	v_and_b32_e32 v95, 63, v0
	s_lshl_b64 s[6:7], s[6:7], 3
                                        ; implicit-def: $vgpr96
	s_wait_alu 0xfffe
	s_add_nc_u64 s[2:3], s[14:15], s[6:7]
	s_wait_kmcnt 0x0
	v_cmp_gt_u64_e32 vcc_lo, s[0:1], v[69:70]
	v_cmp_le_u64_e64 s0, s[0:1], v[69:70]
	s_delay_alu instid0(VALU_DEP_1)
	s_and_saveexec_b32 s1, s0
	s_wait_alu 0xfffe
	s_xor_b32 s0, exec_lo, s1
; %bb.10:
	v_and_b32_e32 v95, 63, v0
                                        ; implicit-def: $vgpr1_vgpr2
	s_delay_alu instid0(VALU_DEP_1)
	v_or_b32_e32 v96, 64, v95
; %bb.11:
	s_wait_alu 0xfffe
	s_or_saveexec_b32 s1, s0
	s_load_b64 s[2:3], s[2:3], 0x0
                                        ; implicit-def: $vgpr3_vgpr4
                                        ; implicit-def: $vgpr7_vgpr8
                                        ; implicit-def: $vgpr25_vgpr26
                                        ; implicit-def: $vgpr49_vgpr50
                                        ; implicit-def: $vgpr37_vgpr38
                                        ; implicit-def: $vgpr41_vgpr42
                                        ; implicit-def: $vgpr33_vgpr34
                                        ; implicit-def: $vgpr61_vgpr62
                                        ; implicit-def: $vgpr65_vgpr66
                                        ; implicit-def: $vgpr53_vgpr54
                                        ; implicit-def: $vgpr29_vgpr30
                                        ; implicit-def: $vgpr17_vgpr18
                                        ; implicit-def: $vgpr57_vgpr58
                                        ; implicit-def: $vgpr45_vgpr46
                                        ; implicit-def: $vgpr21_vgpr22
                                        ; implicit-def: $vgpr13_vgpr14
	s_xor_b32 exec_lo, exec_lo, s1
	s_cbranch_execz .LBB0_15
; %bb.12:
	s_add_nc_u64 s[6:7], s[12:13], s[6:7]
	v_lshlrev_b64_e32 v[1:2], 4, v[1:2]
	s_load_b64 s[6:7], s[6:7], 0x0
	v_or_b32_e32 v96, 64, v95
                                        ; implicit-def: $vgpr15_vgpr16
                                        ; implicit-def: $vgpr27_vgpr28
                                        ; implicit-def: $vgpr51_vgpr52
                                        ; implicit-def: $vgpr63_vgpr64
                                        ; implicit-def: $vgpr59_vgpr60
                                        ; implicit-def: $vgpr31_vgpr32
                                        ; implicit-def: $vgpr39_vgpr40
                                        ; implicit-def: $vgpr35_vgpr36
	s_wait_kmcnt 0x0
	v_mul_lo_u32 v5, s7, v69
	v_mul_lo_u32 v6, s6, v70
	v_mad_co_u64_u32 v[3:4], null, s6, v69, 0
	s_mov_b32 s6, exec_lo
	s_delay_alu instid0(VALU_DEP_1) | instskip(SKIP_1) | instid1(VALU_DEP_2)
	v_add3_u32 v4, v4, v6, v5
	v_lshlrev_b32_e32 v5, 4, v95
	v_lshlrev_b64_e32 v[3:4], 4, v[3:4]
	s_delay_alu instid0(VALU_DEP_1) | instskip(SKIP_1) | instid1(VALU_DEP_2)
	v_add_co_u32 v3, s0, s8, v3
	s_wait_alu 0xf1ff
	v_add_co_ci_u32_e64 v4, s0, s9, v4, s0
	s_delay_alu instid0(VALU_DEP_2) | instskip(SKIP_1) | instid1(VALU_DEP_2)
	v_add_co_u32 v1, s0, v3, v1
	s_wait_alu 0xf1ff
	v_add_co_ci_u32_e64 v2, s0, v4, v2, s0
	s_delay_alu instid0(VALU_DEP_2) | instskip(SKIP_1) | instid1(VALU_DEP_2)
	v_add_co_u32 v9, s0, v1, v5
	s_wait_alu 0xf1ff
	v_add_co_ci_u32_e64 v10, s0, 0, v2, s0
	s_clause 0x7
	global_load_b128 v[11:14], v[9:10], off
	global_load_b128 v[1:4], v[9:10], off offset:1280
	global_load_b128 v[19:22], v[9:10], off offset:2560
	;; [unrolled: 1-line block ×7, first 2 shown]
	v_cmpx_gt_u32_e32 0x50, v96
; %bb.13:
	s_clause 0x7
	global_load_b128 v[15:18], v[9:10], off offset:1024
	global_load_b128 v[35:38], v[9:10], off offset:2304
	;; [unrolled: 1-line block ×8, first 2 shown]
; %bb.14:
	s_wait_alu 0xfffe
	s_or_b32 exec_lo, exec_lo, s6
.LBB0_15:
	s_delay_alu instid0(SALU_CYCLE_1)
	s_or_b32 exec_lo, exec_lo, s1
	s_wait_loadcnt 0x3
	v_add_f64_e64 v[9:10], v[11:12], -v[23:24]
	s_wait_loadcnt 0x1
	v_add_f64_e64 v[23:24], v[19:20], -v[47:48]
	v_add_f64_e64 v[47:48], v[1:2], -v[43:44]
	;; [unrolled: 1-line block ×3, first 2 shown]
	s_wait_loadcnt 0x0
	v_add_f64_e64 v[49:50], v[5:6], -v[55:56]
	v_add_f64_e64 v[55:56], v[7:8], -v[57:58]
	;; [unrolled: 1-line block ×10, first 2 shown]
	s_mov_b32 s0, 0x667f3bcd
	s_mov_b32 s1, 0x3fe6a09e
	;; [unrolled: 1-line block ×3, first 2 shown]
	s_wait_alu 0xfffe
	s_mov_b32 s6, s0
	v_fma_f64 v[11:12], v[11:12], 2.0, -v[9:10]
	v_fma_f64 v[59:60], v[19:20], 2.0, -v[23:24]
	;; [unrolled: 1-line block ×3, first 2 shown]
	v_add_f64_e32 v[81:82], v[43:44], v[9:10]
	v_fma_f64 v[5:6], v[5:6], 2.0, -v[49:50]
	v_add_f64_e32 v[79:80], v[55:56], v[47:48]
	v_add_f64_e64 v[65:66], v[57:58], -v[49:50]
	v_fma_f64 v[19:20], v[3:4], 2.0, -v[57:58]
	v_fma_f64 v[3:4], v[7:8], 2.0, -v[55:56]
	;; [unrolled: 1-line block ×6, first 2 shown]
	v_add_f64_e32 v[87:88], v[45:46], v[71:72]
	v_fma_f64 v[35:36], v[39:40], 2.0, -v[63:64]
	v_fma_f64 v[37:38], v[41:42], 2.0, -v[61:62]
	v_add_f64_e64 v[41:42], v[53:54], -v[63:64]
	v_add_f64_e64 v[83:84], v[11:12], -v[59:60]
	v_fma_f64 v[9:10], v[9:10], 2.0, -v[81:82]
	v_add_f64_e64 v[27:28], v[1:2], -v[5:6]
	v_fma_f64 v[5:6], v[47:48], 2.0, -v[79:80]
	v_add_f64_e32 v[47:48], v[61:62], v[51:52]
	v_fma_f64 v[59:60], v[57:58], 2.0, -v[65:66]
	v_add_f64_e64 v[39:40], v[19:20], -v[3:4]
	v_fma_f64 v[3:4], v[79:80], s[0:1], v[81:82]
	v_add_f64_e64 v[89:90], v[7:8], -v[49:50]
	v_mul_f64_e32 v[57:58], s[0:1], v[65:66]
	v_fma_f64 v[61:62], v[71:72], 2.0, -v[87:88]
	v_add_f64_e64 v[35:36], v[55:56], -v[35:36]
	v_add_f64_e64 v[37:38], v[15:16], -v[37:38]
	v_fma_f64 v[91:92], v[53:54], 2.0, -v[41:42]
	v_fma_f64 v[11:12], v[11:12], 2.0, -v[83:84]
	v_fma_f64 v[1:2], v[1:2], 2.0, -v[27:28]
	s_wait_alu 0xfffe
	v_fma_f64 v[49:50], v[5:6], s[6:7], v[9:10]
	v_fma_f64 v[85:86], v[51:52], 2.0, -v[47:48]
	v_fma_f64 v[51:52], v[47:48], s[0:1], v[87:88]
	v_add_f64_e32 v[71:72], v[39:40], v[83:84]
	v_fma_f64 v[73:74], v[65:66], s[0:1], v[3:4]
	v_fma_f64 v[63:64], v[7:8], 2.0, -v[89:90]
	v_mul_f64_e32 v[47:48], s[0:1], v[47:48]
	v_and_b32_e32 v65, 64, v0
	v_lshl_add_u32 v66, v95, 6, 0
	v_fma_f64 v[93:94], v[55:56], 2.0, -v[35:36]
	v_mul_f64_e32 v[55:56], s[0:1], v[41:42]
	v_mul_f64_e32 v[53:54], s[0:1], v[91:92]
	v_add_f64_e64 v[75:76], v[11:12], -v[1:2]
	v_fma_f64 v[77:78], v[59:60], s[0:1], v[49:50]
	v_fma_f64 v[7:8], v[85:86], s[6:7], v[61:62]
	v_add_f64_e32 v[1:2], v[37:38], v[89:90]
	v_fma_f64 v[3:4], v[41:42], s[0:1], v[51:52]
	v_mul_f64_e32 v[49:50], s[0:1], v[79:80]
	v_mul_f64_e32 v[51:52], s[0:1], v[5:6]
	;; [unrolled: 1-line block ×4, first 2 shown]
	v_fma_f64 v[79:80], v[83:84], 2.0, -v[71:72]
	v_fma_f64 v[81:82], v[81:82], 2.0, -v[73:74]
	;; [unrolled: 1-line block ×4, first 2 shown]
	v_fma_f64 v[11:12], v[91:92], s[0:1], v[7:8]
	v_add_f64_e64 v[9:10], v[63:64], -v[93:94]
	v_fma_f64 v[5:6], v[89:90], 2.0, -v[1:2]
	v_fma_f64 v[7:8], v[87:88], 2.0, -v[3:4]
	v_cmp_ne_u32_e64 s0, 0, v65
	s_wait_alu 0xf1ff
	s_delay_alu instid0(VALU_DEP_1) | instskip(SKIP_1) | instid1(VALU_DEP_2)
	v_cndmask_b32_e64 v87, 0, 0x280, s0
	v_cmp_gt_u32_e64 s0, 16, v95
	v_lshl_add_u32 v65, v87, 3, v66
	v_lshlrev_b32_e32 v100, 3, v87
	ds_store_b128 v65, v[83:86]
	ds_store_b128 v65, v[79:82] offset:16
	ds_store_b128 v65, v[75:78] offset:32
	ds_store_b128 v65, v[71:74] offset:48
	s_and_saveexec_b32 s1, s0
	s_cbranch_execz .LBB0_17
; %bb.16:
	v_fma_f64 v[73:74], v[61:62], 2.0, -v[11:12]
	v_fma_f64 v[71:72], v[63:64], 2.0, -v[9:10]
	v_lshlrev_b32_e32 v61, 6, v96
	s_delay_alu instid0(VALU_DEP_1)
	v_add3_u32 v61, 0, v61, v100
	ds_store_b128 v61, v[71:74]
	ds_store_b128 v61, v[5:8] offset:16
	ds_store_b128 v61, v[9:12] offset:32
	;; [unrolled: 1-line block ×3, first 2 shown]
.LBB0_17:
	s_wait_alu 0xfffe
	s_or_b32 exec_lo, exec_lo, s1
	v_add_f64_e64 v[25:26], v[13:14], -v[25:26]
	v_fma_f64 v[21:22], v[21:22], 2.0, -v[43:44]
	v_add_f64_e64 v[33:34], v[17:18], -v[33:34]
	v_fma_f64 v[29:30], v[29:30], 2.0, -v[45:46]
	v_fma_f64 v[19:20], v[19:20], 2.0, -v[39:40]
	;; [unrolled: 1-line block ×3, first 2 shown]
	global_wb scope:SCOPE_SE
	s_wait_dscnt 0x0
	s_wait_kmcnt 0x0
	s_barrier_signal -1
	s_barrier_wait -1
	global_inv scope:SCOPE_SE
	v_fma_f64 v[13:14], v[13:14], 2.0, -v[25:26]
	v_add_f64_e64 v[23:24], v[25:26], -v[23:24]
	v_fma_f64 v[17:18], v[17:18], 2.0, -v[33:34]
	v_add_f64_e64 v[31:32], v[33:34], -v[31:32]
	s_delay_alu instid0(VALU_DEP_4) | instskip(NEXT) | instid1(VALU_DEP_4)
	v_add_f64_e64 v[21:22], v[13:14], -v[21:22]
	v_fma_f64 v[25:26], v[25:26], 2.0, -v[23:24]
	v_add_f64_e32 v[39:40], v[57:58], v[23:24]
	v_add_f64_e64 v[29:30], v[17:18], -v[29:30]
	v_fma_f64 v[43:44], v[33:34], 2.0, -v[31:32]
	v_add_f64_e32 v[33:34], v[55:56], v[31:32]
	v_fma_f64 v[63:64], v[13:14], 2.0, -v[21:22]
	v_add_f64_e64 v[13:14], v[25:26], -v[59:60]
	v_add_f64_e64 v[55:56], v[21:22], -v[27:28]
	v_add_f64_e64 v[57:58], v[39:40], -v[49:50]
	v_fma_f64 v[45:46], v[17:18], 2.0, -v[29:30]
	v_add_f64_e64 v[17:18], v[43:44], -v[53:54]
	v_add_f64_e64 v[15:16], v[33:34], -v[47:48]
	v_lshl_add_u32 v49, v96, 3, 0
	s_delay_alu instid0(VALU_DEP_1)
	v_add_nc_u32_e32 v98, v49, v100
	v_add_f64_e64 v[59:60], v[63:64], -v[19:20]
	v_add_f64_e64 v[61:62], v[13:14], -v[51:52]
	;; [unrolled: 1-line block ×3, first 2 shown]
	v_fma_f64 v[50:51], v[21:22], 2.0, -v[55:56]
	v_fma_f64 v[52:53], v[23:24], 2.0, -v[57:58]
	v_add_f64_e64 v[21:22], v[45:46], -v[37:38]
	v_add_f64_e64 v[23:24], v[17:18], -v[41:42]
	v_fma_f64 v[19:20], v[31:32], 2.0, -v[15:16]
	v_fma_f64 v[71:72], v[63:64], 2.0, -v[59:60]
	;; [unrolled: 1-line block ×4, first 2 shown]
	v_lshlrev_b32_e32 v25, 3, v95
	v_mul_i32_i24_e32 v26, 0xffffffc8, v95
	s_delay_alu instid0(VALU_DEP_2) | instskip(NEXT) | instid1(VALU_DEP_2)
	v_add3_u32 v99, 0, v100, v25
	v_add3_u32 v97, v66, v26, v100
	ds_load_b64 v[41:42], v99
	ds_load_b64 v[47:48], v98
	ds_load_2addr_stride64_b64 v[25:28], v97 offset0:2 offset1:3
	ds_load_2addr_stride64_b64 v[29:32], v97 offset0:4 offset1:5
	;; [unrolled: 1-line block ×4, first 2 shown]
	global_wb scope:SCOPE_SE
	s_wait_dscnt 0x0
	s_barrier_signal -1
	s_barrier_wait -1
	global_inv scope:SCOPE_SE
	ds_store_b128 v65, v[71:74]
	ds_store_b128 v65, v[50:53] offset:16
	ds_store_b128 v65, v[59:62] offset:32
	;; [unrolled: 1-line block ×3, first 2 shown]
	s_and_saveexec_b32 s1, s0
	s_cbranch_execz .LBB0_19
; %bb.18:
	v_fma_f64 v[50:51], v[45:46], 2.0, -v[21:22]
	v_fma_f64 v[52:53], v[43:44], 2.0, -v[23:24]
	v_mul_i32_i24_e32 v43, 56, v96
	s_delay_alu instid0(VALU_DEP_1)
	v_add3_u32 v43, v49, v43, v100
	ds_store_b128 v43, v[50:53]
	ds_store_b128 v43, v[17:20] offset:16
	ds_store_b128 v43, v[21:24] offset:32
	;; [unrolled: 1-line block ×3, first 2 shown]
.LBB0_19:
	s_wait_alu 0xfffe
	s_or_b32 exec_lo, exec_lo, s1
	v_and_b32_e32 v0, 7, v0
	global_wb scope:SCOPE_SE
	s_wait_dscnt 0x0
	s_barrier_signal -1
	s_barrier_wait -1
	global_inv scope:SCOPE_SE
	v_mul_u32_u24_e32 v43, 9, v0
	s_mov_b32 s12, 0x134454ff
	s_mov_b32 s13, 0xbfee6f0e
	;; [unrolled: 1-line block ×4, first 2 shown]
	v_lshlrev_b32_e32 v43, 4, v43
	s_mov_b32 s14, 0x4755a5e
	s_mov_b32 s15, 0xbfe2cf23
	;; [unrolled: 1-line block ×4, first 2 shown]
	s_clause 0x8
	global_load_b128 v[55:58], v43, s[4:5] offset:32
	global_load_b128 v[59:62], v43, s[4:5] offset:64
	;; [unrolled: 1-line block ×4, first 2 shown]
	global_load_b128 v[79:82], v43, s[4:5]
	global_load_b128 v[83:86], v43, s[4:5] offset:16
	global_load_b128 v[87:90], v43, s[4:5] offset:48
	;; [unrolled: 1-line block ×4, first 2 shown]
	ds_load_2addr_stride64_b64 v[105:108], v97 offset0:2 offset1:3
	ds_load_2addr_stride64_b64 v[109:112], v97 offset0:4 offset1:5
	;; [unrolled: 1-line block ×4, first 2 shown]
	s_mov_b32 s16, 0x372fe950
	s_mov_b32 s17, 0x3fd3c6ef
	;; [unrolled: 1-line block ×8, first 2 shown]
	s_wait_loadcnt 0x8
	v_mul_f64_e32 v[43:44], v[27:28], v[57:58]
	s_wait_loadcnt 0x7
	v_mul_f64_e32 v[45:46], v[31:32], v[61:62]
	s_wait_loadcnt 0x6
	v_mul_f64_e32 v[53:54], v[35:36], v[65:66]
	s_wait_loadcnt 0x5
	v_mul_f64_e32 v[75:76], v[39:40], v[73:74]
	s_wait_dscnt 0x3
	v_mul_f64_e32 v[57:58], v[107:108], v[57:58]
	s_wait_dscnt 0x2
	v_mul_f64_e32 v[61:62], v[111:112], v[61:62]
	;; [unrolled: 2-line block ×4, first 2 shown]
	s_wait_loadcnt 0x4
	v_mul_f64_e32 v[77:78], v[47:48], v[81:82]
	v_fma_f64 v[51:52], v[107:108], v[55:56], -v[43:44]
	v_fma_f64 v[49:50], v[111:112], v[59:60], -v[45:46]
	;; [unrolled: 1-line block ×4, first 2 shown]
	ds_load_b64 v[75:76], v98
	ds_load_b64 v[53:54], v99
	s_wait_loadcnt 0x3
	v_mul_f64_e32 v[107:108], v[105:106], v[85:86]
	s_wait_loadcnt 0x2
	v_mul_f64_e32 v[111:112], v[109:110], v[89:90]
	;; [unrolled: 2-line block ×4, first 2 shown]
	v_fma_f64 v[27:28], v[27:28], v[55:56], v[57:58]
	v_fma_f64 v[31:32], v[31:32], v[59:60], v[61:62]
	v_fma_f64 v[35:36], v[35:36], v[63:64], v[65:66]
	v_fma_f64 v[39:40], v[39:40], v[71:72], v[73:74]
	v_mul_f64_e32 v[61:62], v[25:26], v[85:86]
	v_mul_f64_e32 v[73:74], v[29:30], v[89:90]
	;; [unrolled: 1-line block ×4, first 2 shown]
	global_wb scope:SCOPE_SE
	s_wait_dscnt 0x0
	s_barrier_signal -1
	s_barrier_wait -1
	global_inv scope:SCOPE_SE
	v_mul_f64_e32 v[81:82], v[75:76], v[81:82]
	v_fma_f64 v[57:58], v[75:76], v[79:80], -v[77:78]
	v_add_f64_e32 v[55:56], v[49:50], v[45:46]
	v_add_f64_e32 v[59:60], v[51:52], v[43:44]
	v_add_f64_e64 v[93:94], v[45:46], -v[43:44]
	v_fma_f64 v[75:76], v[25:26], v[83:84], v[107:108]
	v_fma_f64 v[63:64], v[29:30], v[87:88], v[111:112]
	;; [unrolled: 1-line block ×4, first 2 shown]
	v_add_f64_e32 v[33:34], v[31:32], v[35:36]
	v_add_f64_e32 v[37:38], v[27:28], v[39:40]
	v_fma_f64 v[71:72], v[105:106], v[83:84], -v[61:62]
	v_fma_f64 v[73:74], v[109:110], v[87:88], -v[73:74]
	;; [unrolled: 1-line block ×3, first 2 shown]
	v_add_f64_e64 v[85:86], v[51:52], -v[43:44]
	v_add_f64_e64 v[87:88], v[51:52], -v[49:50]
	v_add_f64_e64 v[101:102], v[49:50], -v[45:46]
	v_add_f64_e64 v[115:116], v[39:40], -v[35:36]
	v_add_f64_e64 v[117:118], v[35:36], -v[39:40]
	v_fma_f64 v[25:26], v[47:48], v[79:80], v[81:82]
	v_add_f64_e64 v[79:80], v[27:28], -v[39:40]
	v_add_f64_e64 v[81:82], v[31:32], -v[35:36]
	v_fma_f64 v[47:48], v[113:114], v[91:92], -v[89:90]
	v_add_f64_e64 v[89:90], v[43:44], -v[45:46]
	v_add_f64_e64 v[91:92], v[49:50], -v[51:52]
	;; [unrolled: 1-line block ×3, first 2 shown]
	v_fma_f64 v[55:56], v[55:56], -0.5, v[57:58]
	v_fma_f64 v[59:60], v[59:60], -0.5, v[57:58]
	v_add_f64_e32 v[107:108], v[41:42], v[75:76]
	v_add_f64_e32 v[61:62], v[63:64], v[65:66]
	v_add_f64_e32 v[83:84], v[75:76], v[77:78]
	v_add_f64_e64 v[119:120], v[65:66], -v[77:78]
	v_add_f64_e64 v[109:110], v[71:72], -v[29:30]
	v_fma_f64 v[33:34], v[33:34], -0.5, v[25:26]
	v_fma_f64 v[37:38], v[37:38], -0.5, v[25:26]
	v_add_f64_e32 v[25:26], v[25:26], v[27:28]
	v_add_f64_e64 v[27:28], v[31:32], -v[27:28]
	v_add_f64_e64 v[111:112], v[73:74], -v[47:48]
	s_wait_alu 0xfffe
	v_fma_f64 v[103:104], v[79:80], s[6:7], v[55:56]
	v_fma_f64 v[105:106], v[81:82], s[12:13], v[59:60]
	;; [unrolled: 1-line block ×4, first 2 shown]
	v_add_f64_e32 v[107:108], v[107:108], v[63:64]
	v_fma_f64 v[61:62], v[61:62], -0.5, v[41:42]
	v_fma_f64 v[41:42], v[83:84], -0.5, v[41:42]
	v_add_f64_e32 v[83:84], v[87:88], v[89:90]
	v_add_f64_e32 v[87:88], v[91:92], v[93:94]
	v_fma_f64 v[89:90], v[85:86], s[12:13], v[33:34]
	v_fma_f64 v[33:34], v[85:86], s[6:7], v[33:34]
	;; [unrolled: 1-line block ×4, first 2 shown]
	v_add_f64_e32 v[25:26], v[25:26], v[31:32]
	v_add_f64_e32 v[31:32], v[113:114], v[115:116]
	;; [unrolled: 1-line block ×3, first 2 shown]
	v_fma_f64 v[93:94], v[81:82], s[8:9], v[103:104]
	v_fma_f64 v[103:104], v[79:80], s[8:9], v[105:106]
	;; [unrolled: 1-line block ×4, first 2 shown]
	v_add_f64_e64 v[79:80], v[75:76], -v[63:64]
	v_add_f64_e64 v[81:82], v[77:78], -v[65:66]
	v_fma_f64 v[113:114], v[109:110], s[12:13], v[61:62]
	v_add_f64_e64 v[105:106], v[63:64], -v[75:76]
	v_fma_f64 v[61:62], v[109:110], s[6:7], v[61:62]
	v_fma_f64 v[115:116], v[111:112], s[6:7], v[41:42]
	v_fma_f64 v[41:42], v[111:112], s[12:13], v[41:42]
	v_fma_f64 v[117:118], v[101:102], s[14:15], v[89:90]
	v_fma_f64 v[33:34], v[101:102], s[8:9], v[33:34]
	v_fma_f64 v[101:102], v[85:86], s[14:15], v[91:92]
	v_fma_f64 v[37:38], v[85:86], s[8:9], v[37:38]
	v_add_f64_e32 v[25:26], v[25:26], v[35:36]
	v_fma_f64 v[93:94], v[83:84], s[16:17], v[93:94]
	v_fma_f64 v[91:92], v[87:88], s[16:17], v[103:104]
	;; [unrolled: 1-line block ×4, first 2 shown]
	v_add_f64_e32 v[103:104], v[107:108], v[65:66]
	v_add_f64_e32 v[55:56], v[79:80], v[81:82]
	v_fma_f64 v[35:36], v[111:112], s[14:15], v[113:114]
	v_add_f64_e32 v[59:60], v[105:106], v[119:120]
	v_fma_f64 v[61:62], v[111:112], s[8:9], v[61:62]
	v_fma_f64 v[105:106], v[109:110], s[14:15], v[115:116]
	;; [unrolled: 1-line block ×7, first 2 shown]
	v_add_f64_e32 v[25:26], v[25:26], v[39:40]
	v_mul_f64_e32 v[27:28], s[14:15], v[93:94]
	v_mul_f64_e32 v[31:32], s[12:13], v[91:92]
	;; [unrolled: 1-line block ×4, first 2 shown]
	v_add_f64_e32 v[101:102], v[103:104], v[77:78]
	v_fma_f64 v[35:36], v[55:56], s[16:17], v[35:36]
	v_fma_f64 v[39:40], v[55:56], s[16:17], v[61:62]
	;; [unrolled: 1-line block ×8, first 2 shown]
	v_add_f64_e32 v[59:60], v[101:102], v[25:26]
	v_add_f64_e64 v[61:62], v[101:102], -v[25:26]
	v_add_nc_u32_e32 v101, 0x800, v97
	v_add_f64_e32 v[102:103], v[35:36], v[27:28]
	v_add_f64_e32 v[104:105], v[55:56], v[31:32]
	;; [unrolled: 1-line block ×4, first 2 shown]
	v_add_f64_e64 v[27:28], v[35:36], -v[27:28]
	v_add_f64_e64 v[31:32], v[55:56], -v[31:32]
	;; [unrolled: 1-line block ×4, first 2 shown]
	v_lshrrev_b32_e32 v33, 3, v95
	s_delay_alu instid0(VALU_DEP_1) | instskip(NEXT) | instid1(VALU_DEP_1)
	v_mul_u32_u24_e32 v33, 0x50, v33
	v_or_b32_e32 v0, v33, v0
	s_delay_alu instid0(VALU_DEP_1) | instskip(SKIP_1) | instid1(VALU_DEP_2)
	v_lshlrev_b32_e32 v33, 3, v0
	v_add_nc_u32_e32 v0, 0x400, v97
	v_add3_u32 v100, 0, v33, v100
	ds_store_2addr_b64 v100, v[59:60], v[102:103] offset1:8
	ds_store_2addr_b64 v100, v[104:105], v[106:107] offset0:16 offset1:24
	ds_store_2addr_b64 v100, v[108:109], v[61:62] offset0:32 offset1:40
	;; [unrolled: 1-line block ×4, first 2 shown]
	global_wb scope:SCOPE_SE
	s_wait_dscnt 0x0
	s_barrier_signal -1
	s_barrier_wait -1
	global_inv scope:SCOPE_SE
	ds_load_2addr_b64 v[39:42], v97 offset0:80 offset1:160
	ds_load_2addr_b64 v[31:34], v0 offset0:112 offset1:192
	;; [unrolled: 1-line block ×3, first 2 shown]
	ds_load_b64 v[59:60], v99
	ds_load_b64 v[61:62], v97 offset:4480
	s_and_saveexec_b32 s1, s0
	s_cbranch_execz .LBB0_21
; %bb.20:
	v_add_nc_u32_e32 v1, 0xc00, v97
	ds_load_2addr_b64 v[7:10], v101 offset0:48 offset1:128
	ds_load_2addr_b64 v[102:105], v1 offset0:80 offset1:160
	;; [unrolled: 1-line block ×3, first 2 shown]
	ds_load_b64 v[55:56], v98
	ds_load_b64 v[3:4], v97 offset:4992
	s_wait_dscnt 0x3
	v_mov_b32_e32 v1, v104
	v_mov_b32_e32 v11, v102
	s_wait_dscnt 0x2
	v_dual_mov_b32 v5, v27 :: v_dual_mov_b32 v6, v28
	v_mov_b32_e32 v2, v105
	v_mov_b32_e32 v12, v103
.LBB0_21:
	s_wait_alu 0xfffe
	s_or_b32 exec_lo, exec_lo, s1
	v_add_f64_e32 v[27:28], v[73:74], v[47:48]
	v_add_f64_e32 v[102:103], v[71:72], v[29:30]
	;; [unrolled: 1-line block ×3, first 2 shown]
	v_add_f64_e64 v[75:76], v[75:76], -v[77:78]
	v_add_f64_e32 v[51:52], v[57:58], v[51:52]
	v_add_f64_e64 v[57:58], v[63:64], -v[65:66]
	v_add_f64_e64 v[63:64], v[71:72], -v[73:74]
	;; [unrolled: 1-line block ×4, first 2 shown]
	v_mul_f64_e32 v[93:94], s[18:19], v[93:94]
	v_mul_f64_e32 v[91:92], s[16:17], v[91:92]
	;; [unrolled: 1-line block ×4, first 2 shown]
	global_wb scope:SCOPE_SE
	s_wait_dscnt 0x0
	s_barrier_signal -1
	s_barrier_wait -1
	global_inv scope:SCOPE_SE
	v_fma_f64 v[27:28], v[27:28], -0.5, v[53:54]
	v_fma_f64 v[53:54], v[102:103], -0.5, v[53:54]
	v_add_f64_e32 v[73:74], v[104:105], v[73:74]
	v_add_f64_e32 v[49:50], v[51:52], v[49:50]
	v_add_f64_e64 v[51:52], v[47:48], -v[29:30]
	v_add_f64_e32 v[63:64], v[63:64], v[65:66]
	v_fma_f64 v[77:78], v[75:76], s[6:7], v[27:28]
	v_fma_f64 v[102:103], v[57:58], s[12:13], v[53:54]
	;; [unrolled: 1-line block ×4, first 2 shown]
	v_add_f64_e32 v[47:48], v[73:74], v[47:48]
	v_add_f64_e32 v[45:46], v[49:50], v[45:46]
	;; [unrolled: 1-line block ×3, first 2 shown]
	v_fma_f64 v[71:72], v[85:86], s[6:7], v[91:92]
	v_fma_f64 v[73:74], v[87:88], s[6:7], -v[89:90]
	v_fma_f64 v[51:52], v[57:58], s[8:9], v[77:78]
	v_fma_f64 v[65:66], v[75:76], s[8:9], v[102:103]
	;; [unrolled: 1-line block ×5, first 2 shown]
	v_add_f64_e32 v[29:30], v[47:48], v[29:30]
	v_add_f64_e32 v[43:44], v[45:46], v[43:44]
	v_fma_f64 v[45:46], v[79:80], s[8:9], -v[83:84]
	v_fma_f64 v[47:48], v[63:64], s[16:17], v[51:52]
	v_fma_f64 v[51:52], v[49:50], s[16:17], v[65:66]
	v_fma_f64 v[49:50], v[49:50], s[16:17], v[53:54]
	v_fma_f64 v[27:28], v[63:64], s[16:17], v[27:28]
	v_add_f64_e32 v[53:54], v[29:30], v[43:44]
	v_add_f64_e64 v[29:30], v[29:30], -v[43:44]
	v_add_f64_e32 v[43:44], v[47:48], v[57:58]
	v_add_f64_e32 v[63:64], v[51:52], v[71:72]
	;; [unrolled: 1-line block ×4, first 2 shown]
	v_add_f64_e64 v[47:48], v[47:48], -v[57:58]
	v_add_f64_e64 v[51:52], v[51:52], -v[71:72]
	;; [unrolled: 1-line block ×4, first 2 shown]
	ds_store_2addr_b64 v100, v[53:54], v[43:44] offset1:8
	ds_store_2addr_b64 v100, v[63:64], v[65:66] offset0:16 offset1:24
	ds_store_2addr_b64 v100, v[75:76], v[29:30] offset0:32 offset1:40
	;; [unrolled: 1-line block ×4, first 2 shown]
	global_wb scope:SCOPE_SE
	s_wait_dscnt 0x0
	s_barrier_signal -1
	s_barrier_wait -1
	global_inv scope:SCOPE_SE
	ds_load_2addr_b64 v[47:50], v97 offset0:80 offset1:160
	ds_load_2addr_b64 v[43:46], v0 offset0:112 offset1:192
	;; [unrolled: 1-line block ×3, first 2 shown]
	ds_load_b64 v[63:64], v99
	ds_load_b64 v[65:66], v97 offset:4480
	s_and_saveexec_b32 s1, s0
	s_cbranch_execz .LBB0_23
; %bb.22:
	v_add_nc_u32_e32 v0, 0x800, v97
	v_add_nc_u32_e32 v13, 0xc00, v97
	ds_load_2addr_b64 v[19:22], v0 offset0:48 offset1:128
	ds_load_2addr_b64 v[71:74], v13 offset0:80 offset1:160
	;; [unrolled: 1-line block ×3, first 2 shown]
	ds_load_b64 v[57:58], v98
	ds_load_b64 v[15:16], v97 offset:4992
	s_wait_dscnt 0x3
	v_dual_mov_b32 v13, v73 :: v_dual_mov_b32 v14, v74
	v_dual_mov_b32 v23, v71 :: v_dual_mov_b32 v24, v72
	s_wait_dscnt 0x2
	v_dual_mov_b32 v17, v29 :: v_dual_mov_b32 v18, v30
.LBB0_23:
	s_wait_alu 0xfffe
	s_or_b32 exec_lo, exec_lo, s1
	s_and_saveexec_b32 s0, vcc_lo
	s_cbranch_execz .LBB0_26
; %bb.24:
	v_mul_u32_u24_e32 v0, 7, v95
	s_mov_b32 s0, 0x667f3bcd
	s_mov_b32 s1, 0x3fe6a09e
	;; [unrolled: 1-line block ×3, first 2 shown]
	s_wait_alu 0xfffe
	s_mov_b32 s6, s0
	v_lshlrev_b32_e32 v0, 4, v0
	v_lshlrev_b64_e32 v[67:68], 4, v[67:68]
	s_clause 0x6
	global_load_b128 v[71:74], v0, s[4:5] offset:1200
	global_load_b128 v[75:78], v0, s[4:5] offset:1168
	;; [unrolled: 1-line block ×7, first 2 shown]
	v_mul_lo_u32 v0, s3, v69
	s_wait_loadcnt 0x6
	v_mul_f64_e32 v[29:30], v[33:34], v[73:74]
	s_wait_loadcnt 0x5
	v_mul_f64_e32 v[101:102], v[41:42], v[75:76]
	;; [unrolled: 2-line block ×7, first 2 shown]
	s_wait_dscnt 0x4
	v_mul_f64_e32 v[85:86], v[47:48], v[85:86]
	v_mul_f64_e32 v[41:42], v[41:42], v[77:78]
	;; [unrolled: 1-line block ×3, first 2 shown]
	s_wait_dscnt 0x2
	v_mul_f64_e32 v[89:90], v[51:52], v[89:90]
	v_mul_f64_e32 v[73:74], v[45:46], v[73:74]
	;; [unrolled: 1-line block ×4, first 2 shown]
	v_fma_f64 v[29:30], v[45:46], v[71:72], -v[29:30]
	v_fma_f64 v[45:46], v[49:50], v[77:78], v[101:102]
	v_fma_f64 v[77:78], v[53:54], v[81:82], v[103:104]
	v_fma_f64 v[47:48], v[47:48], v[83:84], -v[105:106]
	v_fma_f64 v[51:52], v[51:52], v[87:88], -v[107:108]
	v_fma_f64 v[81:82], v[43:44], v[93:94], v[109:110]
	s_wait_dscnt 0x0
	v_fma_f64 v[93:94], v[65:66], v[99:100], v[111:112]
	v_fma_f64 v[39:40], v[39:40], v[83:84], v[85:86]
	v_fma_f64 v[41:42], v[49:50], v[75:76], -v[41:42]
	v_fma_f64 v[37:38], v[53:54], v[79:80], -v[37:38]
	v_fma_f64 v[35:36], v[35:36], v[87:88], v[89:90]
	v_fma_f64 v[33:34], v[33:34], v[71:72], v[73:74]
	v_fma_f64 v[31:32], v[43:44], v[91:92], -v[31:32]
	v_fma_f64 v[43:44], v[65:66], v[97:98], -v[61:62]
	v_add_f64_e64 v[29:30], v[63:64], -v[29:30]
	v_add_f64_e64 v[49:50], v[45:46], -v[77:78]
	;; [unrolled: 1-line block ×8, first 2 shown]
	v_fma_f64 v[63:64], v[63:64], 2.0, -v[29:30]
	v_fma_f64 v[45:46], v[45:46], 2.0, -v[49:50]
	v_add_f64_e64 v[61:62], v[29:30], -v[49:50]
	v_fma_f64 v[47:48], v[47:48], 2.0, -v[51:52]
	v_add_f64_e64 v[65:66], v[51:52], -v[53:54]
	v_fma_f64 v[53:54], v[81:82], 2.0, -v[53:54]
	v_fma_f64 v[41:42], v[41:42], 2.0, -v[37:38]
	;; [unrolled: 1-line block ×4, first 2 shown]
	v_add_f64_e32 v[71:72], v[33:34], v[37:38]
	v_fma_f64 v[31:32], v[31:32], 2.0, -v[43:44]
	v_add_f64_e32 v[43:44], v[35:36], v[43:44]
	v_fma_f64 v[29:30], v[29:30], 2.0, -v[61:62]
	v_fma_f64 v[49:50], v[51:52], 2.0, -v[65:66]
	v_add_f64_e64 v[73:74], v[63:64], -v[41:42]
	v_add_f64_e64 v[37:38], v[39:40], -v[53:54]
	;; [unrolled: 1-line block ×3, first 2 shown]
	v_fma_f64 v[75:76], v[33:34], 2.0, -v[71:72]
	v_add_f64_e64 v[31:32], v[47:48], -v[31:32]
	v_fma_f64 v[41:42], v[35:36], 2.0, -v[43:44]
	v_fma_f64 v[33:34], v[65:66], s[0:1], v[61:62]
	v_fma_f64 v[45:46], v[43:44], s[0:1], v[71:72]
	s_wait_alu 0xfffe
	v_fma_f64 v[53:54], v[49:50], s[6:7], v[29:30]
	v_fma_f64 v[63:64], v[63:64], 2.0, -v[73:74]
	v_fma_f64 v[39:40], v[39:40], 2.0, -v[37:38]
	;; [unrolled: 1-line block ×3, first 2 shown]
	v_add_f64_e64 v[37:38], v[73:74], -v[37:38]
	v_fma_f64 v[47:48], v[47:48], 2.0, -v[31:32]
	v_fma_f64 v[77:78], v[41:42], s[6:7], v[75:76]
	v_add_f64_e32 v[35:36], v[51:52], v[31:32]
	v_fma_f64 v[33:34], v[43:44], s[6:7], v[33:34]
	v_fma_f64 v[31:32], v[65:66], s[0:1], v[45:46]
	;; [unrolled: 1-line block ×3, first 2 shown]
	v_add_f64_e64 v[43:44], v[59:60], -v[39:40]
	v_fma_f64 v[53:54], v[73:74], 2.0, -v[37:38]
	v_add_f64_e64 v[45:46], v[63:64], -v[47:48]
	v_fma_f64 v[39:40], v[49:50], s[0:1], v[77:78]
	v_mul_hi_u32 v78, 0xcccccccd, v95
	v_fma_f64 v[51:52], v[51:52], 2.0, -v[35:36]
	v_mul_lo_u32 v77, s2, v70
	v_mad_co_u64_u32 v[69:70], null, s2, v69, 0
	v_fma_f64 v[49:50], v[61:62], 2.0, -v[33:34]
	v_fma_f64 v[47:48], v[71:72], 2.0, -v[31:32]
	s_delay_alu instid0(VALU_DEP_3) | instskip(SKIP_2) | instid1(VALU_DEP_1)
	v_add3_u32 v70, v70, v77, v0
	v_fma_f64 v[61:62], v[29:30], 2.0, -v[41:42]
	v_lshrrev_b32_e32 v29, 6, v78
	v_mul_lo_u32 v0, 0x50, v29
	v_fma_f64 v[65:66], v[63:64], 2.0, -v[45:46]
	v_fma_f64 v[63:64], v[59:60], 2.0, -v[43:44]
	;; [unrolled: 1-line block ×3, first 2 shown]
	v_lshlrev_b64_e32 v[29:30], 4, v[69:70]
	v_sub_nc_u32_e32 v0, v95, v0
	s_delay_alu instid0(VALU_DEP_2) | instskip(SKIP_1) | instid1(VALU_DEP_3)
	v_add_co_u32 v29, vcc_lo, s10, v29
	s_wait_alu 0xfffd
	v_add_co_ci_u32_e32 v30, vcc_lo, s11, v30, vcc_lo
	s_delay_alu instid0(VALU_DEP_3) | instskip(NEXT) | instid1(VALU_DEP_3)
	v_lshlrev_b32_e32 v69, 4, v0
	v_add_co_u32 v29, vcc_lo, v29, v67
	s_wait_alu 0xfffd
	s_delay_alu instid0(VALU_DEP_3) | instskip(SKIP_1) | instid1(VALU_DEP_3)
	v_add_co_ci_u32_e32 v30, vcc_lo, v30, v68, vcc_lo
	v_add_nc_u32_e32 v0, 64, v95
	v_add_co_u32 v67, vcc_lo, v29, v69
	s_wait_alu 0xfffd
	s_delay_alu instid0(VALU_DEP_3) | instskip(NEXT) | instid1(VALU_DEP_3)
	v_add_co_ci_u32_e32 v68, vcc_lo, 0, v30, vcc_lo
	v_cmp_gt_u32_e32 vcc_lo, 0x50, v0
	s_clause 0x7
	global_store_b128 v[67:68], v[51:54], off offset:2560
	global_store_b128 v[67:68], v[47:50], off offset:3840
	;; [unrolled: 1-line block ×4, first 2 shown]
	global_store_b128 v[67:68], v[63:66], off
	global_store_b128 v[67:68], v[59:62], off offset:1280
	global_store_b128 v[67:68], v[35:38], off offset:7680
	;; [unrolled: 1-line block ×3, first 2 shown]
	s_and_b32 exec_lo, exec_lo, vcc_lo
	s_cbranch_execz .LBB0_26
; %bb.25:
	v_add_nc_u32_e32 v31, -16, v95
	v_cmp_gt_u32_e32 vcc_lo, 0x50, v96
	v_mov_b32_e32 v63, 0
	s_wait_alu 0xfffd
	s_delay_alu instid0(VALU_DEP_3) | instskip(NEXT) | instid1(VALU_DEP_1)
	v_cndmask_b32_e32 v31, v31, v96, vcc_lo
	v_mul_i32_i24_e32 v62, 7, v31
	s_delay_alu instid0(VALU_DEP_1) | instskip(NEXT) | instid1(VALU_DEP_1)
	v_lshlrev_b64_e32 v[31:32], 4, v[62:63]
	v_add_co_u32 v59, vcc_lo, s4, v31
	s_wait_alu 0xfffd
	s_delay_alu instid0(VALU_DEP_2)
	v_add_co_ci_u32_e32 v60, vcc_lo, s5, v32, vcc_lo
	s_clause 0x6
	global_load_b128 v[31:34], v[59:60], off offset:1152
	global_load_b128 v[35:38], v[59:60], off offset:1168
	;; [unrolled: 1-line block ×7, first 2 shown]
	s_wait_loadcnt 0x6
	v_mul_f64_e32 v[64:65], v[27:28], v[33:34]
	v_mul_f64_e32 v[33:34], v[25:26], v[33:34]
	s_wait_loadcnt 0x5
	v_mul_f64_e32 v[66:67], v[17:18], v[37:38]
	v_mul_f64_e32 v[37:38], v[5:6], v[37:38]
	;; [unrolled: 3-line block ×7, first 2 shown]
	v_fma_f64 v[25:26], v[25:26], v[31:32], v[64:65]
	v_fma_f64 v[27:28], v[27:28], v[31:32], -v[33:34]
	v_fma_f64 v[5:6], v[5:6], v[35:36], v[66:67]
	v_fma_f64 v[17:18], v[17:18], v[35:36], -v[37:38]
	;; [unrolled: 2-line block ×7, first 2 shown]
	v_add_nc_u32_e32 v62, 0x90, v95
	v_add_f64_e64 v[9:10], v[55:56], -v[9:10]
	v_add_f64_e64 v[21:22], v[57:58], -v[21:22]
	;; [unrolled: 1-line block ×8, first 2 shown]
	v_fma_f64 v[31:32], v[55:56], 2.0, -v[9:10]
	v_fma_f64 v[33:34], v[57:58], 2.0, -v[21:22]
	;; [unrolled: 1-line block ×6, first 2 shown]
	v_add_f64_e64 v[37:38], v[21:22], -v[1:2]
	v_add_f64_e32 v[35:36], v[9:10], v[13:14]
	v_fma_f64 v[1:2], v[7:8], 2.0, -v[3:4]
	v_fma_f64 v[7:8], v[19:20], 2.0, -v[15:16]
	v_add_f64_e32 v[13:14], v[11:12], v[15:16]
	v_add_f64_e64 v[15:16], v[23:24], -v[3:4]
	v_add_f64_e64 v[19:20], v[31:32], -v[5:6]
	;; [unrolled: 1-line block ×3, first 2 shown]
	v_fma_f64 v[43:44], v[21:22], 2.0, -v[37:38]
	v_fma_f64 v[41:42], v[9:10], 2.0, -v[35:36]
	v_add_f64_e64 v[4:5], v[25:26], -v[1:2]
	v_add_f64_e64 v[1:2], v[27:28], -v[7:8]
	v_fma_f64 v[17:18], v[11:12], 2.0, -v[13:14]
	v_fma_f64 v[21:22], v[23:24], 2.0, -v[15:16]
	v_fma_f64 v[6:7], v[13:14], s[0:1], v[35:36]
	v_fma_f64 v[8:9], v[15:16], s[0:1], v[37:38]
	v_fma_f64 v[31:32], v[31:32], 2.0, -v[19:20]
	v_fma_f64 v[33:34], v[33:34], 2.0, -v[39:40]
	;; [unrolled: 1-line block ×4, first 2 shown]
	v_fma_f64 v[25:26], v[17:18], s[6:7], v[41:42]
	v_fma_f64 v[27:28], v[21:22], s[6:7], v[43:44]
	v_add_f64_e32 v[2:3], v[19:20], v[1:2]
	v_add_f64_e64 v[4:5], v[39:40], -v[4:5]
	v_fma_f64 v[6:7], v[15:16], s[0:1], v[6:7]
	v_fma_f64 v[8:9], v[13:14], s[6:7], v[8:9]
	v_add_f64_e64 v[10:11], v[31:32], -v[10:11]
	v_add_f64_e64 v[12:13], v[33:34], -v[23:24]
	v_fma_f64 v[14:15], v[21:22], s[0:1], v[25:26]
	v_fma_f64 v[16:17], v[17:18], s[6:7], v[27:28]
	v_lshlrev_b64_e32 v[21:22], 4, v[62:63]
	v_dual_mov_b32 v1, v63 :: v_dual_add_nc_u32 v62, 0xe0, v95
	v_fma_f64 v[18:19], v[19:20], 2.0, -v[2:3]
	v_fma_f64 v[24:25], v[37:38], 2.0, -v[8:9]
	s_delay_alu instid0(VALU_DEP_3) | instskip(SKIP_2) | instid1(VALU_DEP_2)
	v_lshlrev_b64_e32 v[26:27], 4, v[62:63]
	v_add_nc_u32_e32 v62, 0x130, v95
	v_lshlrev_b64_e32 v[0:1], 4, v[0:1]
	v_lshlrev_b64_e32 v[47:48], 4, v[62:63]
	v_add_nc_u32_e32 v62, 0x180, v95
	s_delay_alu instid0(VALU_DEP_3) | instskip(SKIP_1) | instid1(VALU_DEP_4)
	v_add_co_u32 v0, vcc_lo, v29, v0
	s_wait_alu 0xfffd
	v_add_co_ci_u32_e32 v1, vcc_lo, v30, v1, vcc_lo
	v_add_co_u32 v45, vcc_lo, v29, v21
	v_fma_f64 v[20:21], v[39:40], 2.0, -v[4:5]
	s_wait_alu 0xfffd
	v_add_co_ci_u32_e32 v46, vcc_lo, v30, v22, vcc_lo
	v_fma_f64 v[22:23], v[35:36], 2.0, -v[6:7]
	v_lshlrev_b64_e32 v[39:40], 4, v[62:63]
	v_add_nc_u32_e32 v62, 0x1d0, v95
	v_add_co_u32 v26, vcc_lo, v29, v26
	s_wait_alu 0xfffd
	v_add_co_ci_u32_e32 v27, vcc_lo, v30, v27, vcc_lo
	v_fma_f64 v[31:32], v[31:32], 2.0, -v[10:11]
	v_fma_f64 v[33:34], v[33:34], 2.0, -v[12:13]
	;; [unrolled: 1-line block ×4, first 2 shown]
	v_lshlrev_b64_e32 v[43:44], 4, v[62:63]
	v_add_nc_u32_e32 v62, 0x220, v95
	v_add_co_u32 v41, vcc_lo, v29, v47
	s_wait_alu 0xfffd
	v_add_co_ci_u32_e32 v42, vcc_lo, v30, v48, vcc_lo
	s_delay_alu instid0(VALU_DEP_3)
	v_lshlrev_b64_e32 v[47:48], 4, v[62:63]
	v_add_nc_u32_e32 v62, 0x270, v95
	v_add_co_u32 v39, vcc_lo, v29, v39
	s_wait_alu 0xfffd
	v_add_co_ci_u32_e32 v40, vcc_lo, v30, v40, vcc_lo
	v_add_co_u32 v43, vcc_lo, v29, v43
	v_lshlrev_b64_e32 v[49:50], 4, v[62:63]
	s_wait_alu 0xfffd
	v_add_co_ci_u32_e32 v44, vcc_lo, v30, v44, vcc_lo
	v_add_co_u32 v47, vcc_lo, v29, v47
	s_wait_alu 0xfffd
	v_add_co_ci_u32_e32 v48, vcc_lo, v30, v48, vcc_lo
	v_add_co_u32 v28, vcc_lo, v29, v49
	s_wait_alu 0xfffd
	v_add_co_ci_u32_e32 v29, vcc_lo, v30, v50, vcc_lo
	s_clause 0x7
	global_store_b128 v[26:27], v[18:21], off
	global_store_b128 v[41:42], v[22:25], off
	;; [unrolled: 1-line block ×8, first 2 shown]
.LBB0_26:
	s_nop 0
	s_sendmsg sendmsg(MSG_DEALLOC_VGPRS)
	s_endpgm
	.section	.rodata,"a",@progbits
	.p2align	6, 0x0
	.amdhsa_kernel fft_rtc_back_len640_factors_8_10_8_wgs_128_tpt_64_halfLds_dp_op_CI_CI_unitstride_sbrr_dirReg
		.amdhsa_group_segment_fixed_size 0
		.amdhsa_private_segment_fixed_size 0
		.amdhsa_kernarg_size 104
		.amdhsa_user_sgpr_count 2
		.amdhsa_user_sgpr_dispatch_ptr 0
		.amdhsa_user_sgpr_queue_ptr 0
		.amdhsa_user_sgpr_kernarg_segment_ptr 1
		.amdhsa_user_sgpr_dispatch_id 0
		.amdhsa_user_sgpr_private_segment_size 0
		.amdhsa_wavefront_size32 1
		.amdhsa_uses_dynamic_stack 0
		.amdhsa_enable_private_segment 0
		.amdhsa_system_sgpr_workgroup_id_x 1
		.amdhsa_system_sgpr_workgroup_id_y 0
		.amdhsa_system_sgpr_workgroup_id_z 0
		.amdhsa_system_sgpr_workgroup_info 0
		.amdhsa_system_vgpr_workitem_id 0
		.amdhsa_next_free_vgpr 121
		.amdhsa_next_free_sgpr 39
		.amdhsa_reserve_vcc 1
		.amdhsa_float_round_mode_32 0
		.amdhsa_float_round_mode_16_64 0
		.amdhsa_float_denorm_mode_32 3
		.amdhsa_float_denorm_mode_16_64 3
		.amdhsa_fp16_overflow 0
		.amdhsa_workgroup_processor_mode 1
		.amdhsa_memory_ordered 1
		.amdhsa_forward_progress 0
		.amdhsa_round_robin_scheduling 0
		.amdhsa_exception_fp_ieee_invalid_op 0
		.amdhsa_exception_fp_denorm_src 0
		.amdhsa_exception_fp_ieee_div_zero 0
		.amdhsa_exception_fp_ieee_overflow 0
		.amdhsa_exception_fp_ieee_underflow 0
		.amdhsa_exception_fp_ieee_inexact 0
		.amdhsa_exception_int_div_zero 0
	.end_amdhsa_kernel
	.text
.Lfunc_end0:
	.size	fft_rtc_back_len640_factors_8_10_8_wgs_128_tpt_64_halfLds_dp_op_CI_CI_unitstride_sbrr_dirReg, .Lfunc_end0-fft_rtc_back_len640_factors_8_10_8_wgs_128_tpt_64_halfLds_dp_op_CI_CI_unitstride_sbrr_dirReg
                                        ; -- End function
	.section	.AMDGPU.csdata,"",@progbits
; Kernel info:
; codeLenInByte = 7236
; NumSgprs: 41
; NumVgprs: 121
; ScratchSize: 0
; MemoryBound: 1
; FloatMode: 240
; IeeeMode: 1
; LDSByteSize: 0 bytes/workgroup (compile time only)
; SGPRBlocks: 5
; VGPRBlocks: 15
; NumSGPRsForWavesPerEU: 41
; NumVGPRsForWavesPerEU: 121
; Occupancy: 10
; WaveLimiterHint : 1
; COMPUTE_PGM_RSRC2:SCRATCH_EN: 0
; COMPUTE_PGM_RSRC2:USER_SGPR: 2
; COMPUTE_PGM_RSRC2:TRAP_HANDLER: 0
; COMPUTE_PGM_RSRC2:TGID_X_EN: 1
; COMPUTE_PGM_RSRC2:TGID_Y_EN: 0
; COMPUTE_PGM_RSRC2:TGID_Z_EN: 0
; COMPUTE_PGM_RSRC2:TIDIG_COMP_CNT: 0
	.text
	.p2alignl 7, 3214868480
	.fill 96, 4, 3214868480
	.type	__hip_cuid_bf58e61387375402,@object ; @__hip_cuid_bf58e61387375402
	.section	.bss,"aw",@nobits
	.globl	__hip_cuid_bf58e61387375402
__hip_cuid_bf58e61387375402:
	.byte	0                               ; 0x0
	.size	__hip_cuid_bf58e61387375402, 1

	.ident	"AMD clang version 19.0.0git (https://github.com/RadeonOpenCompute/llvm-project roc-6.4.0 25133 c7fe45cf4b819c5991fe208aaa96edf142730f1d)"
	.section	".note.GNU-stack","",@progbits
	.addrsig
	.addrsig_sym __hip_cuid_bf58e61387375402
	.amdgpu_metadata
---
amdhsa.kernels:
  - .args:
      - .actual_access:  read_only
        .address_space:  global
        .offset:         0
        .size:           8
        .value_kind:     global_buffer
      - .offset:         8
        .size:           8
        .value_kind:     by_value
      - .actual_access:  read_only
        .address_space:  global
        .offset:         16
        .size:           8
        .value_kind:     global_buffer
      - .actual_access:  read_only
        .address_space:  global
        .offset:         24
        .size:           8
        .value_kind:     global_buffer
      - .actual_access:  read_only
        .address_space:  global
        .offset:         32
        .size:           8
        .value_kind:     global_buffer
      - .offset:         40
        .size:           8
        .value_kind:     by_value
      - .actual_access:  read_only
        .address_space:  global
        .offset:         48
        .size:           8
        .value_kind:     global_buffer
      - .actual_access:  read_only
        .address_space:  global
        .offset:         56
        .size:           8
        .value_kind:     global_buffer
      - .offset:         64
        .size:           4
        .value_kind:     by_value
      - .actual_access:  read_only
        .address_space:  global
        .offset:         72
        .size:           8
        .value_kind:     global_buffer
      - .actual_access:  read_only
        .address_space:  global
        .offset:         80
        .size:           8
        .value_kind:     global_buffer
      - .actual_access:  read_only
        .address_space:  global
        .offset:         88
        .size:           8
        .value_kind:     global_buffer
      - .actual_access:  write_only
        .address_space:  global
        .offset:         96
        .size:           8
        .value_kind:     global_buffer
    .group_segment_fixed_size: 0
    .kernarg_segment_align: 8
    .kernarg_segment_size: 104
    .language:       OpenCL C
    .language_version:
      - 2
      - 0
    .max_flat_workgroup_size: 128
    .name:           fft_rtc_back_len640_factors_8_10_8_wgs_128_tpt_64_halfLds_dp_op_CI_CI_unitstride_sbrr_dirReg
    .private_segment_fixed_size: 0
    .sgpr_count:     41
    .sgpr_spill_count: 0
    .symbol:         fft_rtc_back_len640_factors_8_10_8_wgs_128_tpt_64_halfLds_dp_op_CI_CI_unitstride_sbrr_dirReg.kd
    .uniform_work_group_size: 1
    .uses_dynamic_stack: false
    .vgpr_count:     121
    .vgpr_spill_count: 0
    .wavefront_size: 32
    .workgroup_processor_mode: 1
amdhsa.target:   amdgcn-amd-amdhsa--gfx1201
amdhsa.version:
  - 1
  - 2
...

	.end_amdgpu_metadata
